;; amdgpu-corpus repo=tuanlda78202/gpt-oss-amd kind=compiled arch=gfx906 opt=O3
	.amdgcn_target "amdgcn-amd-amdhsa--gfx906"
	.amdhsa_code_object_version 6
	.text
	.protected	_Z14softmax_kernelPfii  ; -- Begin function _Z14softmax_kernelPfii
	.globl	_Z14softmax_kernelPfii
	.p2align	8
	.type	_Z14softmax_kernelPfii,@function
_Z14softmax_kernelPfii:                 ; @_Z14softmax_kernelPfii
; %bb.0:
	s_load_dwordx2 s[10:11], s[4:5], 0x8
	s_waitcnt lgkmcnt(0)
	s_cmp_ge_i32 s6, s10
	s_cbranch_scc1 .LBB0_36
; %bb.1:
	s_load_dword s0, s[4:5], 0x1c
	s_load_dwordx2 s[12:13], s[4:5], 0x0
	s_mul_i32 s14, s11, s6
	v_cmp_gt_i32_e32 vcc, s11, v0
	s_ashr_i32 s15, s14, 31
	s_waitcnt lgkmcnt(0)
	s_and_b32 s10, s0, 0xffff
	v_mov_b32_e32 v11, 0xff7ff023
	v_lshlrev_b32_e32 v3, 2, v0
	s_and_saveexec_b64 s[2:3], vcc
	s_cbranch_execz .LBB0_5
; %bb.2:
	s_lshl_b64 s[0:1], s[14:15], 2
	s_add_u32 s0, s12, s0
	s_addc_u32 s1, s13, s1
	v_mov_b32_e32 v2, s1
	v_add_co_u32_e64 v1, s[0:1], s0, v3
	v_addc_co_u32_e64 v2, s[0:1], 0, v2, s[0:1]
	s_lshl_b32 s6, s10, 2
	v_mov_b32_e32 v11, 0xff7ff023
	s_mov_b64 s[4:5], 0
	v_mov_b32_e32 v4, v0
.LBB0_3:                                ; =>This Inner Loop Header: Depth=1
	global_load_dword v5, v[1:2], off
	v_add_co_u32_e64 v1, s[0:1], s6, v1
	v_add_u32_e32 v4, s10, v4
	v_addc_co_u32_e64 v2, s[0:1], 0, v2, s[0:1]
	v_cmp_le_i32_e64 s[0:1], s11, v4
	s_or_b64 s[4:5], s[0:1], s[4:5]
	s_waitcnt vmcnt(0)
	v_cmp_lt_f32_e64 s[0:1], v11, v5
	v_cndmask_b32_e64 v11, v11, v5, s[0:1]
	s_andn2_b64 exec, exec, s[4:5]
	s_cbranch_execnz .LBB0_3
; %bb.4:
	s_or_b64 exec, exec, s[4:5]
.LBB0_5:
	s_or_b64 exec, exec, s[2:3]
	v_mbcnt_lo_u32_b32 v1, -1, 0
	v_mbcnt_hi_u32_b32 v1, -1, v1
	v_and_b32_e32 v2, 64, v1
	v_add_u32_e32 v2, 64, v2
	v_xor_b32_e32 v4, 32, v1
	v_cmp_lt_i32_e64 s[0:1], v4, v2
	v_cndmask_b32_e64 v4, v1, v4, s[0:1]
	v_lshlrev_b32_e32 v4, 2, v4
	ds_bpermute_b32 v5, v4, v11
	s_waitcnt lgkmcnt(0)
	v_cmp_ngt_f32_e64 s[0:1], v11, v5
	s_and_saveexec_b64 s[2:3], s[0:1]
; %bb.6:
	ds_bpermute_b32 v11, v4, v11
; %bb.7:
	s_or_b64 exec, exec, s[2:3]
	v_xor_b32_e32 v5, 16, v1
	v_cmp_lt_i32_e64 s[0:1], v5, v2
	v_cndmask_b32_e64 v5, v1, v5, s[0:1]
	v_lshlrev_b32_e32 v5, 2, v5
	s_waitcnt lgkmcnt(0)
	ds_bpermute_b32 v6, v5, v11
	s_waitcnt lgkmcnt(0)
	v_cmp_ngt_f32_e64 s[0:1], v11, v6
	s_and_saveexec_b64 s[2:3], s[0:1]
; %bb.8:
	ds_bpermute_b32 v11, v5, v11
; %bb.9:
	s_or_b64 exec, exec, s[2:3]
	v_xor_b32_e32 v6, 8, v1
	v_cmp_lt_i32_e64 s[0:1], v6, v2
	v_cndmask_b32_e64 v6, v1, v6, s[0:1]
	v_lshlrev_b32_e32 v6, 2, v6
	s_waitcnt lgkmcnt(0)
	;; [unrolled: 13-line block ×5, first 2 shown]
	ds_bpermute_b32 v1, v9, v11
	s_waitcnt lgkmcnt(0)
	v_cmp_ngt_f32_e64 s[0:1], v11, v1
	s_and_saveexec_b64 s[2:3], s[0:1]
; %bb.16:
	ds_bpermute_b32 v11, v9, v11
; %bb.17:
	s_or_b64 exec, exec, s[2:3]
	v_and_b32_e32 v2, 63, v0
	v_cmp_eq_u32_e64 s[0:1], 0, v2
	v_lshrrev_b32_e32 v10, 4, v0
	s_and_saveexec_b64 s[2:3], s[0:1]
	s_cbranch_execz .LBB0_19
; %bb.18:
	s_waitcnt lgkmcnt(0)
	ds_write_b32 v10, v11
.LBB0_19:
	s_or_b64 exec, exec, s[2:3]
	s_lshr_b32 s2, s10, 6
	v_cmp_gt_u32_e64 s[2:3], s2, v0
	v_mov_b32_e32 v1, 0xff7ff023
	s_waitcnt lgkmcnt(0)
	v_lshlrev_b32_e32 v11, 2, v2
	s_barrier
	s_and_saveexec_b64 s[4:5], s[2:3]
	s_cbranch_execnz .LBB0_37
; %bb.20:
	s_or_b64 exec, exec, s[4:5]
	v_cmp_gt_u32_e64 s[4:5], 64, v0
	s_and_saveexec_b64 s[8:9], s[4:5]
	s_cbranch_execnz .LBB0_38
.LBB0_21:
	s_or_b64 exec, exec, s[8:9]
	v_cmp_eq_u32_e64 s[6:7], 0, v0
	s_and_saveexec_b64 s[8:9], s[6:7]
	s_cbranch_execz .LBB0_23
.LBB0_22:
	v_mov_b32_e32 v2, 0
	s_waitcnt lgkmcnt(0)
	ds_write_b32 v2, v1 offset:132
.LBB0_23:
	s_or_b64 exec, exec, s[8:9]
	v_mov_b32_e32 v12, 0
	s_waitcnt lgkmcnt(0)
	s_barrier
	s_and_saveexec_b64 s[16:17], vcc
	s_cbranch_execz .LBB0_27
; %bb.24:
	v_mov_b32_e32 v12, 0
	ds_read_b32 v13, v12 offset:132
	s_lshl_b64 s[8:9], s[14:15], 2
	s_add_u32 s8, s12, s8
	s_addc_u32 s9, s13, s9
	v_mov_b32_e32 v2, s9
	v_add_co_u32_e64 v1, s[8:9], s8, v3
	v_addc_co_u32_e64 v2, s[8:9], 0, v2, s[8:9]
	s_lshl_b32 s20, s10, 2
	s_mov_b64 s[18:19], 0
	s_mov_b32 s21, 0x3fb8aa3b
	s_mov_b32 s22, 0xc2ce8ed0
	;; [unrolled: 1-line block ×3, first 2 shown]
	v_mov_b32_e32 v14, 0x7f800000
	v_mov_b32_e32 v15, v0
.LBB0_25:                               ; =>This Inner Loop Header: Depth=1
	global_load_dword v16, v[1:2], off
	v_add_u32_e32 v15, s10, v15
	v_cmp_le_i32_e64 s[8:9], s11, v15
	s_or_b64 s[18:19], s[8:9], s[18:19]
	s_waitcnt vmcnt(0) lgkmcnt(0)
	v_sub_f32_e32 v16, v16, v13
	v_mul_f32_e32 v17, 0x3fb8aa3b, v16
	v_fma_f32 v18, v16, s21, -v17
	v_rndne_f32_e32 v19, v17
	v_fmac_f32_e32 v18, 0x32a5705f, v16
	v_sub_f32_e32 v17, v17, v19
	v_add_f32_e32 v17, v17, v18
	v_cvt_i32_f32_e32 v19, v19
	v_exp_f32_e32 v17, v17
	v_cmp_ngt_f32_e64 s[8:9], s22, v16
	v_ldexp_f32 v17, v17, v19
	v_cndmask_b32_e64 v17, 0, v17, s[8:9]
	v_cmp_nlt_f32_e64 s[8:9], s23, v16
	v_cndmask_b32_e64 v16, v14, v17, s[8:9]
	global_store_dword v[1:2], v16, off
	v_add_co_u32_e64 v1, s[8:9], s20, v1
	v_add_f32_e32 v12, v12, v16
	v_addc_co_u32_e64 v2, s[8:9], 0, v2, s[8:9]
	s_andn2_b64 exec, exec, s[18:19]
	s_cbranch_execnz .LBB0_25
; %bb.26:
	s_or_b64 exec, exec, s[18:19]
.LBB0_27:
	s_or_b64 exec, exec, s[16:17]
	ds_bpermute_b32 v1, v4, v12
	s_waitcnt lgkmcnt(0)
	v_add_f32_e32 v1, v12, v1
	ds_bpermute_b32 v2, v5, v1
	s_waitcnt lgkmcnt(0)
	v_add_f32_e32 v1, v1, v2
	;; [unrolled: 3-line block ×5, first 2 shown]
	ds_bpermute_b32 v2, v9, v1
	s_and_saveexec_b64 s[8:9], s[0:1]
	s_cbranch_execz .LBB0_29
; %bb.28:
	s_waitcnt lgkmcnt(0)
	v_add_f32_e32 v1, v1, v2
	ds_write_b32 v10, v1 offset:64
.LBB0_29:
	s_or_b64 exec, exec, s[8:9]
	v_mov_b32_e32 v1, 0
	s_waitcnt vmcnt(0) lgkmcnt(0)
	s_barrier
	s_and_saveexec_b64 s[0:1], s[2:3]
	s_cbranch_execnz .LBB0_51
; %bb.30:
	s_or_b64 exec, exec, s[0:1]
	s_and_saveexec_b64 s[0:1], s[4:5]
	s_cbranch_execnz .LBB0_52
.LBB0_31:
	s_or_b64 exec, exec, s[0:1]
	s_and_saveexec_b64 s[0:1], s[6:7]
	s_cbranch_execz .LBB0_33
.LBB0_32:
	v_mov_b32_e32 v2, 0
	s_waitcnt lgkmcnt(0)
	ds_write_b32 v2, v1 offset:128
.LBB0_33:
	s_or_b64 exec, exec, s[0:1]
	s_waitcnt lgkmcnt(0)
	s_barrier
	s_and_saveexec_b64 s[0:1], vcc
	s_cbranch_execz .LBB0_36
; %bb.34:
	v_mov_b32_e32 v1, 0
	ds_read_b32 v4, v1 offset:128
	s_lshl_b64 s[0:1], s[14:15], 2
	s_add_u32 s0, s12, s0
	s_addc_u32 s1, s13, s1
	v_mov_b32_e32 v2, s1
	v_add_co_u32_e32 v1, vcc, s0, v3
	v_addc_co_u32_e32 v2, vcc, 0, v2, vcc
	s_lshl_b32 s2, s10, 2
	s_mov_b64 s[0:1], 0
.LBB0_35:                               ; =>This Inner Loop Header: Depth=1
	global_load_dword v3, v[1:2], off
	v_add_u32_e32 v0, s10, v0
	s_waitcnt vmcnt(0) lgkmcnt(0)
	v_div_scale_f32 v5, s[4:5], v4, v4, v3
	v_div_scale_f32 v6, vcc, v3, v4, v3
	v_rcp_f32_e32 v7, v5
	v_fma_f32 v8, -v5, v7, 1.0
	v_fmac_f32_e32 v7, v8, v7
	v_mul_f32_e32 v8, v6, v7
	v_fma_f32 v9, -v5, v8, v6
	v_fmac_f32_e32 v8, v9, v7
	v_fma_f32 v5, -v5, v8, v6
	v_div_fmas_f32 v5, v5, v7, v8
	v_cmp_le_i32_e32 vcc, s11, v0
	s_or_b64 s[0:1], vcc, s[0:1]
	v_div_fixup_f32 v3, v5, v4, v3
	global_store_dword v[1:2], v3, off
	v_add_co_u32_e32 v1, vcc, s2, v1
	v_addc_co_u32_e32 v2, vcc, 0, v2, vcc
	s_andn2_b64 exec, exec, s[0:1]
	s_cbranch_execnz .LBB0_35
.LBB0_36:
	s_endpgm
.LBB0_37:
	ds_read_b32 v1, v11
	s_or_b64 exec, exec, s[4:5]
	v_cmp_gt_u32_e64 s[4:5], 64, v0
	s_and_saveexec_b64 s[8:9], s[4:5]
	s_cbranch_execz .LBB0_21
.LBB0_38:
	s_waitcnt lgkmcnt(0)
	ds_bpermute_b32 v2, v4, v1
	s_waitcnt lgkmcnt(0)
	v_cmp_ngt_f32_e64 s[6:7], v1, v2
	s_and_saveexec_b64 s[16:17], s[6:7]
; %bb.39:
	ds_bpermute_b32 v1, v4, v1
; %bb.40:
	s_or_b64 exec, exec, s[16:17]
	s_waitcnt lgkmcnt(0)
	ds_bpermute_b32 v2, v5, v1
	s_waitcnt lgkmcnt(0)
	v_cmp_ngt_f32_e64 s[6:7], v1, v2
	s_and_saveexec_b64 s[16:17], s[6:7]
; %bb.41:
	ds_bpermute_b32 v1, v5, v1
; %bb.42:
	s_or_b64 exec, exec, s[16:17]
	;; [unrolled: 9-line block ×6, first 2 shown]
	s_or_b64 exec, exec, s[8:9]
	v_cmp_eq_u32_e64 s[6:7], 0, v0
	s_and_saveexec_b64 s[8:9], s[6:7]
	s_cbranch_execnz .LBB0_22
	s_branch .LBB0_23
.LBB0_51:
	ds_read_b32 v1, v11 offset:64
	s_or_b64 exec, exec, s[0:1]
	s_and_saveexec_b64 s[0:1], s[4:5]
	s_cbranch_execz .LBB0_31
.LBB0_52:
	s_waitcnt lgkmcnt(0)
	ds_bpermute_b32 v2, v4, v1
	s_waitcnt lgkmcnt(0)
	v_add_f32_e32 v1, v1, v2
	ds_bpermute_b32 v2, v5, v1
	s_waitcnt lgkmcnt(0)
	v_add_f32_e32 v1, v1, v2
	;; [unrolled: 3-line block ×6, first 2 shown]
	s_or_b64 exec, exec, s[0:1]
	s_and_saveexec_b64 s[0:1], s[6:7]
	s_cbranch_execnz .LBB0_32
	s_branch .LBB0_33
	.section	.rodata,"a",@progbits
	.p2align	6, 0x0
	.amdhsa_kernel _Z14softmax_kernelPfii
		.amdhsa_group_segment_fixed_size 136
		.amdhsa_private_segment_fixed_size 0
		.amdhsa_kernarg_size 272
		.amdhsa_user_sgpr_count 6
		.amdhsa_user_sgpr_private_segment_buffer 1
		.amdhsa_user_sgpr_dispatch_ptr 0
		.amdhsa_user_sgpr_queue_ptr 0
		.amdhsa_user_sgpr_kernarg_segment_ptr 1
		.amdhsa_user_sgpr_dispatch_id 0
		.amdhsa_user_sgpr_flat_scratch_init 0
		.amdhsa_user_sgpr_private_segment_size 0
		.amdhsa_uses_dynamic_stack 0
		.amdhsa_system_sgpr_private_segment_wavefront_offset 0
		.amdhsa_system_sgpr_workgroup_id_x 1
		.amdhsa_system_sgpr_workgroup_id_y 0
		.amdhsa_system_sgpr_workgroup_id_z 0
		.amdhsa_system_sgpr_workgroup_info 0
		.amdhsa_system_vgpr_workitem_id 0
		.amdhsa_next_free_vgpr 20
		.amdhsa_next_free_sgpr 24
		.amdhsa_reserve_vcc 1
		.amdhsa_reserve_flat_scratch 0
		.amdhsa_float_round_mode_32 0
		.amdhsa_float_round_mode_16_64 0
		.amdhsa_float_denorm_mode_32 3
		.amdhsa_float_denorm_mode_16_64 3
		.amdhsa_dx10_clamp 1
		.amdhsa_ieee_mode 1
		.amdhsa_fp16_overflow 0
		.amdhsa_exception_fp_ieee_invalid_op 0
		.amdhsa_exception_fp_denorm_src 0
		.amdhsa_exception_fp_ieee_div_zero 0
		.amdhsa_exception_fp_ieee_overflow 0
		.amdhsa_exception_fp_ieee_underflow 0
		.amdhsa_exception_fp_ieee_inexact 0
		.amdhsa_exception_int_div_zero 0
	.end_amdhsa_kernel
	.text
.Lfunc_end0:
	.size	_Z14softmax_kernelPfii, .Lfunc_end0-_Z14softmax_kernelPfii
                                        ; -- End function
	.set _Z14softmax_kernelPfii.num_vgpr, 20
	.set _Z14softmax_kernelPfii.num_agpr, 0
	.set _Z14softmax_kernelPfii.numbered_sgpr, 24
	.set _Z14softmax_kernelPfii.num_named_barrier, 0
	.set _Z14softmax_kernelPfii.private_seg_size, 0
	.set _Z14softmax_kernelPfii.uses_vcc, 1
	.set _Z14softmax_kernelPfii.uses_flat_scratch, 0
	.set _Z14softmax_kernelPfii.has_dyn_sized_stack, 0
	.set _Z14softmax_kernelPfii.has_recursion, 0
	.set _Z14softmax_kernelPfii.has_indirect_call, 0
	.section	.AMDGPU.csdata,"",@progbits
; Kernel info:
; codeLenInByte = 1812
; TotalNumSgprs: 28
; NumVgprs: 20
; ScratchSize: 0
; MemoryBound: 0
; FloatMode: 240
; IeeeMode: 1
; LDSByteSize: 136 bytes/workgroup (compile time only)
; SGPRBlocks: 3
; VGPRBlocks: 4
; NumSGPRsForWavesPerEU: 28
; NumVGPRsForWavesPerEU: 20
; Occupancy: 10
; WaveLimiterHint : 0
; COMPUTE_PGM_RSRC2:SCRATCH_EN: 0
; COMPUTE_PGM_RSRC2:USER_SGPR: 6
; COMPUTE_PGM_RSRC2:TRAP_HANDLER: 0
; COMPUTE_PGM_RSRC2:TGID_X_EN: 1
; COMPUTE_PGM_RSRC2:TGID_Y_EN: 0
; COMPUTE_PGM_RSRC2:TGID_Z_EN: 0
; COMPUTE_PGM_RSRC2:TIDIG_COMP_CNT: 0
	.section	.AMDGPU.gpr_maximums,"",@progbits
	.set amdgpu.max_num_vgpr, 0
	.set amdgpu.max_num_agpr, 0
	.set amdgpu.max_num_sgpr, 0
	.section	.AMDGPU.csdata,"",@progbits
	.type	__hip_cuid_d7df23a91e872252,@object ; @__hip_cuid_d7df23a91e872252
	.section	.bss,"aw",@nobits
	.globl	__hip_cuid_d7df23a91e872252
__hip_cuid_d7df23a91e872252:
	.byte	0                               ; 0x0
	.size	__hip_cuid_d7df23a91e872252, 1

	.ident	"AMD clang version 22.0.0git (https://github.com/RadeonOpenCompute/llvm-project roc-7.2.4 26084 f58b06dce1f9c15707c5f808fd002e18c2accf7e)"
	.section	".note.GNU-stack","",@progbits
	.addrsig
	.addrsig_sym __hip_cuid_d7df23a91e872252
	.amdgpu_metadata
---
amdhsa.kernels:
  - .args:
      - .address_space:  global
        .offset:         0
        .size:           8
        .value_kind:     global_buffer
      - .offset:         8
        .size:           4
        .value_kind:     by_value
      - .offset:         12
        .size:           4
        .value_kind:     by_value
      - .offset:         16
        .size:           4
        .value_kind:     hidden_block_count_x
      - .offset:         20
        .size:           4
        .value_kind:     hidden_block_count_y
      - .offset:         24
        .size:           4
        .value_kind:     hidden_block_count_z
      - .offset:         28
        .size:           2
        .value_kind:     hidden_group_size_x
      - .offset:         30
        .size:           2
        .value_kind:     hidden_group_size_y
      - .offset:         32
        .size:           2
        .value_kind:     hidden_group_size_z
      - .offset:         34
        .size:           2
        .value_kind:     hidden_remainder_x
      - .offset:         36
        .size:           2
        .value_kind:     hidden_remainder_y
      - .offset:         38
        .size:           2
        .value_kind:     hidden_remainder_z
      - .offset:         56
        .size:           8
        .value_kind:     hidden_global_offset_x
      - .offset:         64
        .size:           8
        .value_kind:     hidden_global_offset_y
      - .offset:         72
        .size:           8
        .value_kind:     hidden_global_offset_z
      - .offset:         80
        .size:           2
        .value_kind:     hidden_grid_dims
    .group_segment_fixed_size: 136
    .kernarg_segment_align: 8
    .kernarg_segment_size: 272
    .language:       OpenCL C
    .language_version:
      - 2
      - 0
    .max_flat_workgroup_size: 1024
    .name:           _Z14softmax_kernelPfii
    .private_segment_fixed_size: 0
    .sgpr_count:     28
    .sgpr_spill_count: 0
    .symbol:         _Z14softmax_kernelPfii.kd
    .uniform_work_group_size: 1
    .uses_dynamic_stack: false
    .vgpr_count:     20
    .vgpr_spill_count: 0
    .wavefront_size: 64
amdhsa.target:   amdgcn-amd-amdhsa--gfx906
amdhsa.version:
  - 1
  - 2
...

	.end_amdgpu_metadata
